;; amdgpu-corpus repo=ROCm/rocFFT kind=compiled arch=gfx1030 opt=O3
	.text
	.amdgcn_target "amdgcn-amd-amdhsa--gfx1030"
	.amdhsa_code_object_version 6
	.protected	fft_rtc_back_len858_factors_13_11_6_wgs_234_tpt_78_halfLds_dp_ip_CI_unitstride_sbrr_dirReg ; -- Begin function fft_rtc_back_len858_factors_13_11_6_wgs_234_tpt_78_halfLds_dp_ip_CI_unitstride_sbrr_dirReg
	.globl	fft_rtc_back_len858_factors_13_11_6_wgs_234_tpt_78_halfLds_dp_ip_CI_unitstride_sbrr_dirReg
	.p2align	8
	.type	fft_rtc_back_len858_factors_13_11_6_wgs_234_tpt_78_halfLds_dp_ip_CI_unitstride_sbrr_dirReg,@function
fft_rtc_back_len858_factors_13_11_6_wgs_234_tpt_78_halfLds_dp_ip_CI_unitstride_sbrr_dirReg: ; @fft_rtc_back_len858_factors_13_11_6_wgs_234_tpt_78_halfLds_dp_ip_CI_unitstride_sbrr_dirReg
; %bb.0:
	s_load_dwordx4 s[8:11], s[4:5], 0x0
	v_mul_u32_u24_e32 v1, 0x349, v0
	s_clause 0x1
	s_load_dwordx2 s[2:3], s[4:5], 0x50
	s_load_dwordx2 s[12:13], s[4:5], 0x18
	v_mov_b32_e32 v5, 0
	v_mov_b32_e32 v3, 0
	;; [unrolled: 1-line block ×3, first 2 shown]
	v_lshrrev_b32_e32 v1, 16, v1
	v_mad_u64_u32 v[1:2], null, s6, 3, v[1:2]
	v_mov_b32_e32 v2, v5
	v_mov_b32_e32 v10, v2
	;; [unrolled: 1-line block ×3, first 2 shown]
	s_waitcnt lgkmcnt(0)
	v_cmp_lt_u64_e64 s0, s[10:11], 2
	s_and_b32 vcc_lo, exec_lo, s0
	s_cbranch_vccnz .LBB0_8
; %bb.1:
	s_load_dwordx2 s[0:1], s[4:5], 0x10
	v_mov_b32_e32 v3, 0
	v_mov_b32_e32 v8, v2
	s_add_u32 s6, s12, 8
	v_mov_b32_e32 v4, 0
	v_mov_b32_e32 v7, v1
	s_addc_u32 s7, s13, 0
	s_mov_b64 s[16:17], 1
	s_waitcnt lgkmcnt(0)
	s_add_u32 s14, s0, 8
	s_addc_u32 s15, s1, 0
.LBB0_2:                                ; =>This Inner Loop Header: Depth=1
	s_load_dwordx2 s[18:19], s[14:15], 0x0
                                        ; implicit-def: $vgpr9_vgpr10
	s_mov_b32 s0, exec_lo
	s_waitcnt lgkmcnt(0)
	v_or_b32_e32 v6, s19, v8
	v_cmpx_ne_u64_e32 0, v[5:6]
	s_xor_b32 s1, exec_lo, s0
	s_cbranch_execz .LBB0_4
; %bb.3:                                ;   in Loop: Header=BB0_2 Depth=1
	v_cvt_f32_u32_e32 v2, s18
	v_cvt_f32_u32_e32 v6, s19
	s_sub_u32 s0, 0, s18
	s_subb_u32 s20, 0, s19
	v_fmac_f32_e32 v2, 0x4f800000, v6
	v_rcp_f32_e32 v2, v2
	v_mul_f32_e32 v2, 0x5f7ffffc, v2
	v_mul_f32_e32 v6, 0x2f800000, v2
	v_trunc_f32_e32 v6, v6
	v_fmac_f32_e32 v2, 0xcf800000, v6
	v_cvt_u32_f32_e32 v6, v6
	v_cvt_u32_f32_e32 v2, v2
	v_mul_lo_u32 v9, s0, v6
	v_mul_hi_u32 v10, s0, v2
	v_mul_lo_u32 v11, s20, v2
	v_add_nc_u32_e32 v9, v10, v9
	v_mul_lo_u32 v10, s0, v2
	v_add_nc_u32_e32 v9, v9, v11
	v_mul_hi_u32 v11, v2, v10
	v_mul_lo_u32 v12, v2, v9
	v_mul_hi_u32 v13, v2, v9
	v_mul_hi_u32 v14, v6, v10
	v_mul_lo_u32 v10, v6, v10
	v_mul_hi_u32 v15, v6, v9
	v_mul_lo_u32 v9, v6, v9
	v_add_co_u32 v11, vcc_lo, v11, v12
	v_add_co_ci_u32_e32 v12, vcc_lo, 0, v13, vcc_lo
	v_add_co_u32 v10, vcc_lo, v11, v10
	v_add_co_ci_u32_e32 v10, vcc_lo, v12, v14, vcc_lo
	v_add_co_ci_u32_e32 v11, vcc_lo, 0, v15, vcc_lo
	v_add_co_u32 v9, vcc_lo, v10, v9
	v_add_co_ci_u32_e32 v10, vcc_lo, 0, v11, vcc_lo
	v_add_co_u32 v2, vcc_lo, v2, v9
	v_add_co_ci_u32_e32 v6, vcc_lo, v6, v10, vcc_lo
	v_mul_hi_u32 v9, s0, v2
	v_mul_lo_u32 v11, s20, v2
	v_mul_lo_u32 v10, s0, v6
	v_add_nc_u32_e32 v9, v9, v10
	v_mul_lo_u32 v10, s0, v2
	v_add_nc_u32_e32 v9, v9, v11
	v_mul_hi_u32 v11, v2, v10
	v_mul_lo_u32 v12, v2, v9
	v_mul_hi_u32 v13, v2, v9
	v_mul_hi_u32 v14, v6, v10
	v_mul_lo_u32 v10, v6, v10
	v_mul_hi_u32 v15, v6, v9
	v_mul_lo_u32 v9, v6, v9
	v_add_co_u32 v11, vcc_lo, v11, v12
	v_add_co_ci_u32_e32 v12, vcc_lo, 0, v13, vcc_lo
	v_add_co_u32 v10, vcc_lo, v11, v10
	v_add_co_ci_u32_e32 v10, vcc_lo, v12, v14, vcc_lo
	v_add_co_ci_u32_e32 v11, vcc_lo, 0, v15, vcc_lo
	v_add_co_u32 v9, vcc_lo, v10, v9
	v_add_co_ci_u32_e32 v10, vcc_lo, 0, v11, vcc_lo
	v_add_co_u32 v2, vcc_lo, v2, v9
	v_add_co_ci_u32_e32 v6, vcc_lo, v6, v10, vcc_lo
	v_mul_hi_u32 v15, v7, v2
	v_mad_u64_u32 v[11:12], null, v8, v2, 0
	v_mad_u64_u32 v[9:10], null, v7, v6, 0
	v_mad_u64_u32 v[13:14], null, v8, v6, 0
	v_add_co_u32 v2, vcc_lo, v15, v9
	v_add_co_ci_u32_e32 v6, vcc_lo, 0, v10, vcc_lo
	v_add_co_u32 v2, vcc_lo, v2, v11
	v_add_co_ci_u32_e32 v2, vcc_lo, v6, v12, vcc_lo
	v_add_co_ci_u32_e32 v6, vcc_lo, 0, v14, vcc_lo
	v_add_co_u32 v2, vcc_lo, v2, v13
	v_add_co_ci_u32_e32 v6, vcc_lo, 0, v6, vcc_lo
	v_mul_lo_u32 v11, s19, v2
	v_mad_u64_u32 v[9:10], null, s18, v2, 0
	v_mul_lo_u32 v12, s18, v6
	v_sub_co_u32 v9, vcc_lo, v7, v9
	v_add3_u32 v10, v10, v12, v11
	v_sub_nc_u32_e32 v11, v8, v10
	v_subrev_co_ci_u32_e64 v11, s0, s19, v11, vcc_lo
	v_add_co_u32 v12, s0, v2, 2
	v_add_co_ci_u32_e64 v13, s0, 0, v6, s0
	v_sub_co_u32 v14, s0, v9, s18
	v_sub_co_ci_u32_e32 v10, vcc_lo, v8, v10, vcc_lo
	v_subrev_co_ci_u32_e64 v11, s0, 0, v11, s0
	v_cmp_le_u32_e32 vcc_lo, s18, v14
	v_cmp_eq_u32_e64 s0, s19, v10
	v_cndmask_b32_e64 v14, 0, -1, vcc_lo
	v_cmp_le_u32_e32 vcc_lo, s19, v11
	v_cndmask_b32_e64 v15, 0, -1, vcc_lo
	v_cmp_le_u32_e32 vcc_lo, s18, v9
	;; [unrolled: 2-line block ×3, first 2 shown]
	v_cndmask_b32_e64 v16, 0, -1, vcc_lo
	v_cmp_eq_u32_e32 vcc_lo, s19, v11
	v_cndmask_b32_e64 v9, v16, v9, s0
	v_cndmask_b32_e32 v11, v15, v14, vcc_lo
	v_add_co_u32 v14, vcc_lo, v2, 1
	v_add_co_ci_u32_e32 v15, vcc_lo, 0, v6, vcc_lo
	v_cmp_ne_u32_e32 vcc_lo, 0, v11
	v_cndmask_b32_e32 v10, v15, v13, vcc_lo
	v_cndmask_b32_e32 v11, v14, v12, vcc_lo
	v_cmp_ne_u32_e32 vcc_lo, 0, v9
	v_cndmask_b32_e32 v10, v6, v10, vcc_lo
	v_cndmask_b32_e32 v9, v2, v11, vcc_lo
.LBB0_4:                                ;   in Loop: Header=BB0_2 Depth=1
	s_andn2_saveexec_b32 s0, s1
	s_cbranch_execz .LBB0_6
; %bb.5:                                ;   in Loop: Header=BB0_2 Depth=1
	v_cvt_f32_u32_e32 v2, s18
	s_sub_i32 s1, 0, s18
	v_rcp_iflag_f32_e32 v2, v2
	v_mul_f32_e32 v2, 0x4f7ffffe, v2
	v_cvt_u32_f32_e32 v2, v2
	v_mul_lo_u32 v6, s1, v2
	v_mul_hi_u32 v6, v2, v6
	v_add_nc_u32_e32 v2, v2, v6
	v_mul_hi_u32 v2, v7, v2
	v_mul_lo_u32 v6, v2, s18
	v_add_nc_u32_e32 v9, 1, v2
	v_sub_nc_u32_e32 v6, v7, v6
	v_subrev_nc_u32_e32 v10, s18, v6
	v_cmp_le_u32_e32 vcc_lo, s18, v6
	v_cndmask_b32_e32 v6, v6, v10, vcc_lo
	v_cndmask_b32_e32 v2, v2, v9, vcc_lo
	v_mov_b32_e32 v10, v5
	v_cmp_le_u32_e32 vcc_lo, s18, v6
	v_add_nc_u32_e32 v9, 1, v2
	v_cndmask_b32_e32 v9, v2, v9, vcc_lo
.LBB0_6:                                ;   in Loop: Header=BB0_2 Depth=1
	s_or_b32 exec_lo, exec_lo, s0
	s_load_dwordx2 s[0:1], s[6:7], 0x0
	v_mul_lo_u32 v2, v10, s18
	v_mul_lo_u32 v6, v9, s19
	v_mad_u64_u32 v[11:12], null, v9, s18, 0
	s_add_u32 s16, s16, 1
	s_addc_u32 s17, s17, 0
	s_add_u32 s6, s6, 8
	s_addc_u32 s7, s7, 0
	;; [unrolled: 2-line block ×3, first 2 shown]
	v_add3_u32 v2, v12, v6, v2
	v_sub_co_u32 v6, vcc_lo, v7, v11
	v_sub_co_ci_u32_e32 v2, vcc_lo, v8, v2, vcc_lo
	s_waitcnt lgkmcnt(0)
	v_mul_lo_u32 v7, s1, v6
	v_mul_lo_u32 v2, s0, v2
	v_mad_u64_u32 v[3:4], null, s0, v6, v[3:4]
	v_cmp_ge_u64_e64 s0, s[16:17], s[10:11]
	s_and_b32 vcc_lo, exec_lo, s0
	v_add3_u32 v4, v7, v4, v2
	s_cbranch_vccnz .LBB0_8
; %bb.7:                                ;   in Loop: Header=BB0_2 Depth=1
	v_mov_b32_e32 v7, v9
	v_mov_b32_e32 v8, v10
	s_branch .LBB0_2
.LBB0_8:
	s_lshl_b64 s[0:1], s[10:11], 3
	v_mul_hi_u32 v5, 0x3483484, v0
	s_add_u32 s0, s12, s0
	s_addc_u32 s1, s13, s1
                                        ; implicit-def: $vgpr12_vgpr13
                                        ; implicit-def: $vgpr16_vgpr17
                                        ; implicit-def: $vgpr20_vgpr21
                                        ; implicit-def: $vgpr32_vgpr33
                                        ; implicit-def: $vgpr36_vgpr37
                                        ; implicit-def: $vgpr24_vgpr25
                                        ; implicit-def: $vgpr28_vgpr29
                                        ; implicit-def: $vgpr40_vgpr41
                                        ; implicit-def: $vgpr44_vgpr45
                                        ; implicit-def: $vgpr48_vgpr49
                                        ; implicit-def: $vgpr56_vgpr57
                                        ; implicit-def: $vgpr52_vgpr53
	s_load_dwordx2 s[0:1], s[0:1], 0x0
	s_load_dwordx2 s[4:5], s[4:5], 0x20
	s_waitcnt lgkmcnt(0)
	v_mul_lo_u32 v6, s0, v10
	v_mul_lo_u32 v7, s1, v9
	v_mad_u64_u32 v[2:3], null, s0, v9, v[3:4]
	v_mul_u32_u24_e32 v4, 0x4e, v5
	v_cmp_gt_u64_e32 vcc_lo, s[4:5], v[9:10]
                                        ; implicit-def: $vgpr8_vgpr9
	v_sub_nc_u32_e32 v78, v0, v4
	v_add3_u32 v3, v7, v3, v6
	v_cmp_gt_u32_e64 s0, 0x42, v78
	v_lshlrev_b64 v[80:81], 4, v[2:3]
	s_and_b32 s1, vcc_lo, s0
	s_and_saveexec_b32 s4, s1
	s_cbranch_execz .LBB0_10
; %bb.9:
	v_mov_b32_e32 v79, 0
	v_add_co_u32 v0, s1, s2, v80
	v_add_co_ci_u32_e64 v4, s1, s3, v81, s1
	v_lshlrev_b64 v[2:3], 4, v[78:79]
	v_add_co_u32 v2, s1, v0, v2
	v_add_co_ci_u32_e64 v3, s1, v4, v3, s1
	s_clause 0x1
	global_load_dwordx4 v[6:9], v[2:3], off
	global_load_dwordx4 v[50:53], v[2:3], off offset:1056
	v_add_co_u32 v4, s1, 0x800, v2
	v_add_co_ci_u32_e64 v5, s1, 0, v3, s1
	v_add_co_u32 v10, s1, 0x1000, v2
	v_add_co_ci_u32_e64 v11, s1, 0, v3, s1
	;; [unrolled: 2-line block ×3, first 2 shown]
	s_clause 0x5
	global_load_dwordx4 v[54:57], v[4:5], off offset:64
	global_load_dwordx4 v[46:49], v[4:5], off offset:1120
	;; [unrolled: 1-line block ×6, first 2 shown]
	v_add_co_u32 v4, s1, 0x2000, v2
	v_add_co_ci_u32_e64 v5, s1, 0, v3, s1
	v_add_co_u32 v10, s1, 0x2800, v2
	v_add_co_ci_u32_e64 v11, s1, 0, v3, s1
	;; [unrolled: 2-line block ×3, first 2 shown]
	s_clause 0x4
	global_load_dwordx4 v[34:37], v[4:5], off offset:256
	global_load_dwordx4 v[30:33], v[4:5], off offset:1312
	;; [unrolled: 1-line block ×5, first 2 shown]
.LBB0_10:
	s_or_b32 exec_lo, exec_lo, s4
	s_waitcnt vmcnt(0)
	v_add_f64 v[4:5], v[52:53], -v[12:13]
	s_mov_b32 s14, 0x42a4c3d2
	s_mov_b32 s15, 0xbfea55e2
	v_add_f64 v[70:71], v[10:11], v[50:51]
	v_add_f64 v[60:61], v[56:57], -v[16:17]
	s_mov_b32 s4, 0x1ea71119
	s_mov_b32 s16, 0x2ef20147
	s_mov_b32 s5, 0x3fe22d96
	s_mov_b32 s17, 0xbfedeba7
	v_add_f64 v[82:83], v[14:15], v[54:55]
	v_add_f64 v[68:69], v[48:49], -v[20:21]
	s_mov_b32 s6, 0xb2365da1
	s_mov_b32 s20, 0x4bc48dbf
	;; [unrolled: 6-line block ×3, first 2 shown]
	s_mov_b32 s11, 0xbfef11f4
	s_mov_b32 s25, 0x3fe5384d
	v_add_f64 v[72:73], v[30:31], v[42:43]
	v_mul_f64 v[74:75], v[4:5], s[14:15]
	v_add_f64 v[58:59], v[40:41], -v[36:37]
	s_mov_b32 s12, 0xd0032e0c
	s_mov_b32 s26, 0x66966769
	v_mul_f64 v[88:89], v[60:61], s[16:17]
	s_mov_b32 s13, 0xbfe7f3cc
	s_mov_b32 s27, 0x3fefc445
	v_add_f64 v[86:87], v[34:35], v[38:39]
	s_mov_b32 s18, 0xebaa3ed8
	s_mov_b32 s28, 0x4267c47c
	v_mul_f64 v[92:93], v[68:69], s[20:21]
	s_mov_b32 s19, 0x3fbedb7d
	s_mov_b32 s29, 0x3fddbe06
	v_add_f64 v[84:85], v[22:23], v[26:27]
	s_mov_b32 s22, 0xe00740e9
	s_mov_b32 s23, 0x3fec55a7
	v_mul_f64 v[94:95], v[64:65], s[24:25]
	v_mul_hi_u32 v0, 0xaaaaaaab, v1
	v_fma_f64 v[2:3], v[70:71], s[4:5], -v[74:75]
	v_mul_f64 v[66:67], v[58:59], s[26:27]
	v_lshrrev_b32_e32 v0, 1, v0
	v_fma_f64 v[62:63], v[82:83], s[6:7], -v[88:89]
	v_lshl_add_u32 v0, v0, 1, v0
	v_fma_f64 v[76:77], v[90:91], s[10:11], -v[92:93]
	v_sub_nc_u32_e32 v0, v1, v0
	v_fma_f64 v[96:97], v[72:73], s[12:13], -v[94:95]
	v_mul_u32_u24_e32 v0, 0x35a, v0
	v_add_f64 v[2:3], v[6:7], v[2:3]
	v_fma_f64 v[98:99], v[86:87], s[18:19], -v[66:67]
	v_lshlrev_b32_e32 v79, 3, v0
	v_add_f64 v[2:3], v[62:63], v[2:3]
	v_add_f64 v[62:63], v[28:29], -v[24:25]
	v_add_f64 v[2:3], v[76:77], v[2:3]
	v_mul_f64 v[76:77], v[62:63], s[28:29]
	v_add_f64 v[2:3], v[96:97], v[2:3]
	v_fma_f64 v[96:97], v[84:85], s[22:23], -v[76:77]
	v_add_f64 v[2:3], v[98:99], v[2:3]
	v_add_f64 v[2:3], v[96:97], v[2:3]
	s_and_saveexec_b32 s1, s0
	s_cbranch_execz .LBB0_12
; %bb.11:
	v_add_f64 v[0:1], v[50:51], v[6:7]
	v_mul_f64 v[96:97], v[70:71], s[10:11]
	v_mul_f64 v[106:107], v[70:71], s[4:5]
	;; [unrolled: 1-line block ×11, first 2 shown]
	s_mov_b32 s31, 0x3fcea1e5
	s_mov_b32 s30, s20
	;; [unrolled: 1-line block ×10, first 2 shown]
	v_add_f64 v[0:1], v[54:55], v[0:1]
	v_mul_f64 v[118:119], v[82:83], s[10:11]
	v_fma_f64 v[136:137], v[4:5], s[30:31], v[96:97]
	v_add_f64 v[74:75], v[74:75], v[106:107]
	v_fma_f64 v[140:141], v[4:5], s[26:27], v[116:117]
	v_fma_f64 v[116:117], v[4:5], s[36:37], v[116:117]
	v_mul_f64 v[114:115], v[82:83], s[12:13]
	v_mul_f64 v[120:121], v[90:91], s[12:13]
	;; [unrolled: 1-line block ×6, first 2 shown]
	v_add_f64 v[94:95], v[94:95], v[98:99]
	v_add_f64 v[92:93], v[92:93], v[100:101]
	v_fma_f64 v[98:99], v[60:61], s[42:43], v[102:103]
	v_add_f64 v[88:89], v[88:89], v[104:105]
	v_fma_f64 v[100:101], v[60:61], s[28:29], v[102:103]
	v_fma_f64 v[102:103], v[4:5], s[24:25], v[108:109]
	;; [unrolled: 1-line block ×6, first 2 shown]
	v_add_f64 v[0:1], v[46:47], v[0:1]
	v_fma_f64 v[112:113], v[4:5], s[16:17], v[112:113]
	v_fma_f64 v[96:97], v[4:5], s[20:21], v[96:97]
	v_mul_f64 v[82:83], v[82:83], s[4:5]
	v_fma_f64 v[150:151], v[4:5], s[42:43], v[70:71]
	v_fma_f64 v[4:5], v[4:5], s[28:29], v[70:71]
	s_mov_b32 s41, 0x3fea55e2
	s_mov_b32 s40, s14
	v_fma_f64 v[142:143], v[60:61], s[30:31], v[118:119]
	v_fma_f64 v[118:119], v[60:61], s[20:21], v[118:119]
	v_add_f64 v[136:137], v[6:7], v[136:137]
	v_add_f64 v[116:117], v[6:7], v[116:117]
	;; [unrolled: 1-line block ×3, first 2 shown]
	v_fma_f64 v[138:139], v[60:61], s[34:35], v[114:115]
	v_fma_f64 v[114:115], v[60:61], s[24:25], v[114:115]
	;; [unrolled: 1-line block ×7, first 2 shown]
	v_add_f64 v[70:71], v[6:7], v[102:103]
	v_fma_f64 v[102:103], v[68:69], s[28:29], v[124:125]
	v_add_f64 v[0:1], v[42:43], v[0:1]
	v_fma_f64 v[124:125], v[68:69], s[16:17], v[126:127]
	;; [unrolled: 2-line block ×3, first 2 shown]
	v_fma_f64 v[152:153], v[68:69], s[26:27], v[90:91]
	v_fma_f64 v[68:69], v[68:69], s[36:37], v[90:91]
	v_add_f64 v[90:91], v[6:7], v[112:113]
	v_add_f64 v[96:97], v[6:7], v[96:97]
	v_add_f64 v[110:111], v[6:7], v[110:111]
	v_add_f64 v[140:141], v[6:7], v[140:141]
	v_fma_f64 v[112:113], v[60:61], s[40:41], v[82:83]
	v_fma_f64 v[60:61], v[60:61], s[14:15], v[82:83]
	v_add_f64 v[150:151], v[6:7], v[150:151]
	v_add_f64 v[4:5], v[6:7], v[4:5]
	v_mul_f64 v[128:129], v[72:73], s[4:5]
	v_mul_f64 v[134:135], v[72:73], s[22:23]
	v_add_f64 v[98:99], v[98:99], v[136:137]
	v_add_f64 v[116:117], v[118:119], v[116:117]
	;; [unrolled: 1-line block ×3, first 2 shown]
	v_mul_f64 v[130:131], v[72:73], s[10:11]
	v_mul_f64 v[132:133], v[72:73], s[18:19]
	v_add_f64 v[6:7], v[104:105], v[70:71]
	v_add_f64 v[0:1], v[38:39], v[0:1]
	v_mul_f64 v[72:73], v[72:73], s[6:7]
	v_add_f64 v[104:105], v[108:109], v[106:107]
	v_mul_f64 v[82:83], v[86:87], s[6:7]
	v_mul_f64 v[136:137], v[86:87], s[22:23]
	;; [unrolled: 1-line block ×3, first 2 shown]
	v_add_f64 v[90:91], v[114:115], v[90:91]
	v_add_f64 v[96:97], v[100:101], v[96:97]
	;; [unrolled: 1-line block ×4, first 2 shown]
	v_mul_f64 v[100:101], v[86:87], s[10:11]
	v_mul_f64 v[106:107], v[86:87], s[18:19]
	v_add_f64 v[60:61], v[60:61], v[150:151]
	v_add_f64 v[4:5], v[112:113], v[4:5]
	v_mul_f64 v[86:87], v[86:87], s[12:13]
	v_fma_f64 v[118:119], v[64:65], s[14:15], v[128:129]
	v_fma_f64 v[112:113], v[64:65], s[42:43], v[134:135]
	;; [unrolled: 1-line block ×3, first 2 shown]
	v_add_f64 v[98:99], v[144:145], v[98:99]
	v_add_f64 v[116:117], v[126:127], v[116:117]
	;; [unrolled: 1-line block ×3, first 2 shown]
	v_fma_f64 v[88:89], v[64:65], s[20:21], v[130:131]
	v_add_f64 v[0:1], v[26:27], v[0:1]
	v_fma_f64 v[130:131], v[64:65], s[30:31], v[130:131]
	v_fma_f64 v[140:141], v[64:65], s[26:27], v[132:133]
	;; [unrolled: 1-line block ×3, first 2 shown]
	v_add_f64 v[6:7], v[146:147], v[6:7]
	v_add_f64 v[104:105], v[122:123], v[104:105]
	;; [unrolled: 1-line block ×3, first 2 shown]
	v_fma_f64 v[128:129], v[64:65], s[40:41], v[128:129]
	v_add_f64 v[96:97], v[120:121], v[96:97]
	v_add_f64 v[92:93], v[148:149], v[108:109]
	;; [unrolled: 1-line block ×3, first 2 shown]
	v_fma_f64 v[142:143], v[64:65], s[16:17], v[72:73]
	v_add_f64 v[60:61], v[68:69], v[60:61]
	v_fma_f64 v[64:65], v[64:65], s[38:39], v[72:73]
	v_add_f64 v[4:5], v[152:153], v[4:5]
	v_mul_f64 v[110:111], v[84:85], s[22:23]
	v_mul_f64 v[120:121], v[84:85], s[12:13]
	v_fma_f64 v[146:147], v[58:59], s[38:39], v[82:83]
	v_fma_f64 v[82:83], v[58:59], s[16:17], v[82:83]
	;; [unrolled: 1-line block ×5, first 2 shown]
	v_add_f64 v[0:1], v[22:23], v[0:1]
	v_fma_f64 v[100:101], v[58:59], s[30:31], v[100:101]
	v_fma_f64 v[124:125], v[58:59], s[40:41], v[70:71]
	v_fma_f64 v[70:71], v[58:59], s[14:15], v[70:71]
	v_add_f64 v[66:67], v[66:67], v[106:107]
	v_fma_f64 v[106:107], v[58:59], s[34:35], v[86:87]
	v_fma_f64 v[58:59], v[58:59], s[24:25], v[86:87]
	v_add_f64 v[86:87], v[118:119], v[98:99]
	v_add_f64 v[98:99], v[134:135], v[116:117]
	;; [unrolled: 1-line block ×3, first 2 shown]
	v_mul_f64 v[72:73], v[84:85], s[6:7]
	v_mul_f64 v[144:145], v[84:85], s[4:5]
	v_add_f64 v[6:7], v[88:89], v[6:7]
	v_add_f64 v[88:89], v[130:131], v[104:105]
	;; [unrolled: 1-line block ×3, first 2 shown]
	v_mul_f64 v[114:115], v[84:85], s[18:19]
	v_mul_f64 v[84:85], v[84:85], s[10:11]
	v_add_f64 v[96:97], v[128:129], v[96:97]
	v_add_f64 v[92:93], v[140:141], v[92:93]
	;; [unrolled: 1-line block ×7, first 2 shown]
	v_fma_f64 v[116:117], v[62:63], s[34:35], v[120:121]
	v_add_f64 v[70:71], v[70:71], v[98:99]
	v_add_f64 v[66:67], v[66:67], v[74:75]
	v_fma_f64 v[104:105], v[62:63], s[38:39], v[72:73]
	v_fma_f64 v[72:73], v[62:63], s[16:17], v[72:73]
	;; [unrolled: 1-line block ×3, first 2 shown]
	v_add_f64 v[6:7], v[68:69], v[6:7]
	v_add_f64 v[68:69], v[108:109], v[88:89]
	;; [unrolled: 1-line block ×3, first 2 shown]
	v_fma_f64 v[64:65], v[62:63], s[36:37], v[114:115]
	v_fma_f64 v[102:103], v[62:63], s[26:27], v[114:115]
	v_fma_f64 v[110:111], v[62:63], s[14:15], v[144:145]
	v_fma_f64 v[114:115], v[62:63], s[24:25], v[120:121]
	v_fma_f64 v[118:119], v[62:63], s[30:31], v[84:85]
	v_fma_f64 v[62:63], v[62:63], s[20:21], v[84:85]
	v_add_f64 v[0:1], v[30:31], v[0:1]
	v_add_f64 v[84:85], v[146:147], v[86:87]
	;; [unrolled: 1-line block ×19, first 2 shown]
	v_mul_u32_u24_e32 v62, 0x68, v78
	v_add3_u32 v62, 0, v62, v79
	v_add_f64 v[0:1], v[14:15], v[0:1]
	v_add_f64 v[0:1], v[10:11], v[0:1]
	ds_write2_b64 v62, v[66:67], v[70:71] offset0:2 offset1:3
	ds_write2_b64 v62, v[72:73], v[68:69] offset0:4 offset1:5
	;; [unrolled: 1-line block ×5, first 2 shown]
	ds_write2_b64 v62, v[0:1], v[60:61] offset1:1
	ds_write_b64 v62, v[4:5] offset:96
.LBB0_12:
	s_or_b32 exec_lo, exec_lo, s1
	v_add_f64 v[90:91], v[50:51], -v[10:11]
	v_add_f64 v[82:83], v[12:13], v[52:53]
	v_add_f64 v[86:87], v[54:55], -v[14:15]
	v_add_f64 v[50:51], v[16:17], v[56:57]
	;; [unrolled: 2-line block ×5, first 2 shown]
	v_add_f64 v[38:39], v[26:27], -v[22:23]
	s_waitcnt lgkmcnt(0)
	s_barrier
	buffer_gl0_inv
	v_mul_f64 v[54:55], v[90:91], s[14:15]
	v_mul_f64 v[46:47], v[86:87], s[16:17]
	;; [unrolled: 1-line block ×6, first 2 shown]
	v_fma_f64 v[0:1], v[82:83], s[4:5], v[54:55]
	v_fma_f64 v[4:5], v[50:51], s[6:7], v[46:47]
	;; [unrolled: 1-line block ×4, first 2 shown]
	v_add_f64 v[0:1], v[8:9], v[0:1]
	v_add_f64 v[0:1], v[4:5], v[0:1]
	v_add_f64 v[4:5], v[24:25], v[28:29]
	v_add_f64 v[0:1], v[6:7], v[0:1]
	v_fma_f64 v[6:7], v[10:11], s[18:19], v[22:23]
	v_add_f64 v[0:1], v[58:59], v[0:1]
	v_fma_f64 v[58:59], v[4:5], s[22:23], v[26:27]
	v_add_f64 v[6:7], v[6:7], v[0:1]
	v_lshlrev_b32_e32 v0, 3, v78
	v_add_nc_u32_e32 v98, 0, v0
	v_add3_u32 v93, 0, v79, v0
	v_add_nc_u32_e32 v92, v98, v79
	ds_read_b64 v[0:1], v93
	v_add_nc_u32_e32 v94, 0x400, v92
	v_add_nc_u32_e32 v95, 0x800, v92
	;; [unrolled: 1-line block ×4, first 2 shown]
	ds_read2_b64 v[74:77], v92 offset0:78 offset1:156
	ds_read2_b64 v[70:73], v94 offset0:106 offset1:184
	v_add_f64 v[6:7], v[58:59], v[6:7]
	ds_read2_b64 v[66:69], v95 offset0:134 offset1:212
	ds_read2_b64 v[58:61], v96 offset0:34 offset1:112
	;; [unrolled: 1-line block ×3, first 2 shown]
	s_waitcnt lgkmcnt(0)
	s_barrier
	buffer_gl0_inv
	s_and_saveexec_b32 s33, s0
	s_cbranch_execz .LBB0_14
; %bb.13:
	v_add_f64 v[52:53], v[52:53], v[8:9]
	s_mov_b32 s36, 0x66966769
	v_mul_f64 v[105:106], v[10:11], s[18:19]
	v_mul_f64 v[107:108], v[4:5], s[22:23]
	s_mov_b32 s17, 0xbfddbe06
	s_mov_b32 s16, 0x4267c47c
	;; [unrolled: 1-line block ×8, first 2 shown]
	v_mul_f64 v[99:100], v[82:83], s[4:5]
	s_mov_b32 s25, 0xbfcea1e5
	v_mul_f64 v[109:110], v[90:91], s[36:37]
	v_mul_f64 v[101:102], v[18:19], s[10:11]
	;; [unrolled: 1-line block ×5, first 2 shown]
	s_mov_b32 s4, 0xe00740e9
	s_mov_b32 s0, 0xebaa3ed8
	;; [unrolled: 1-line block ×3, first 2 shown]
	v_add_f64 v[52:53], v[56:57], v[52:53]
	v_mul_f64 v[56:57], v[50:51], s[6:7]
	s_mov_b32 s5, 0x3fec55a7
	s_mov_b32 s1, 0x3fbedb7d
	s_mov_b32 s10, 0xd0032e0c
	s_mov_b32 s39, 0xbfea55e2
	s_mov_b32 s27, 0x3fe5384d
	s_mov_b32 s21, 0x3fefc445
	s_mov_b32 s26, s22
	s_mov_b32 s20, s36
	s_mov_b32 s11, 0xbfe7f3cc
	s_mov_b32 s12, 0x93053d00
	s_mov_b32 s13, 0xbfef11f4
	v_mul_f64 v[115:116], v[86:87], s[38:39]
	v_mul_f64 v[117:118], v[86:87], s[24:25]
	;; [unrolled: 1-line block ×4, first 2 shown]
	v_add_f64 v[54:55], v[99:100], -v[54:55]
	v_fma_f64 v[99:100], v[82:83], s[0:1], -v[109:110]
	v_add_f64 v[30:31], v[101:102], -v[30:31]
	v_add_f64 v[34:35], v[103:104], -v[34:35]
	;; [unrolled: 1-line block ×3, first 2 shown]
	v_add_f64 v[48:49], v[48:49], v[52:53]
	v_mul_f64 v[52:53], v[90:91], s[16:17]
	v_mul_f64 v[90:91], v[90:91], s[24:25]
	s_mov_b32 s17, 0x3fddbe06
	v_add_f64 v[46:47], v[56:57], -v[46:47]
	v_mul_f64 v[86:87], v[86:87], s[16:17]
	v_fma_f64 v[101:102], v[82:83], s[6:7], -v[111:112]
	v_fma_f64 v[103:104], v[82:83], s[6:7], v[111:112]
	v_fma_f64 v[105:106], v[82:83], s[10:11], -v[113:114]
	v_add_f64 v[26:27], v[107:108], -v[26:27]
	v_fma_f64 v[111:112], v[82:83], s[10:11], v[113:114]
	v_fma_f64 v[109:110], v[82:83], s[0:1], v[109:110]
	s_mov_b32 s14, 0x1ea71119
	s_mov_b32 s15, 0x3fe22d96
	;; [unrolled: 1-line block ×4, first 2 shown]
	v_fma_f64 v[113:114], v[50:51], s[12:13], -v[117:118]
	v_mul_f64 v[143:144], v[88:89], s[34:35]
	v_fma_f64 v[151:152], v[50:51], s[0:1], -v[141:142]
	v_fma_f64 v[141:142], v[50:51], s[0:1], v[141:142]
	v_add_f64 v[54:55], v[8:9], v[54:55]
	v_mul_f64 v[119:120], v[88:89], s[38:39]
	v_add_f64 v[44:45], v[44:45], v[48:49]
	v_fma_f64 v[56:57], v[82:83], s[4:5], -v[52:53]
	v_fma_f64 v[107:108], v[82:83], s[12:13], -v[90:91]
	v_fma_f64 v[90:91], v[82:83], s[12:13], v[90:91]
	v_mul_f64 v[48:49], v[88:89], s[36:37]
	v_fma_f64 v[153:154], v[50:51], s[4:5], -v[86:87]
	v_mul_f64 v[121:122], v[88:89], s[22:23]
	v_mul_f64 v[88:89], v[88:89], s[16:17]
	s_mov_b32 s29, 0x3fcea1e5
	s_mov_b32 s31, 0x3fea55e2
	;; [unrolled: 1-line block ×3, first 2 shown]
	v_add_f64 v[109:110], v[8:9], v[109:110]
	s_mov_b32 s30, s38
	v_mul_f64 v[123:124], v[42:43], s[18:19]
	v_mul_f64 v[125:126], v[42:43], s[36:37]
	v_mul_f64 v[145:146], v[42:43], s[16:17]
	v_mul_f64 v[127:128], v[84:85], s[22:23]
	v_fma_f64 v[155:156], v[18:19], s[6:7], -v[143:144]
	v_fma_f64 v[143:144], v[18:19], s[6:7], v[143:144]
	v_mul_f64 v[129:130], v[84:85], s[38:39]
	v_add_f64 v[46:47], v[46:47], v[54:55]
	v_mul_f64 v[131:132], v[84:85], s[18:19]
	v_add_f64 v[40:41], v[40:41], v[44:45]
	v_add_f64 v[56:57], v[8:9], v[56:57]
	v_mul_f64 v[44:45], v[42:43], s[28:29]
	v_add_f64 v[90:91], v[8:9], v[90:91]
	v_mul_f64 v[42:43], v[42:43], s[30:31]
	v_mul_f64 v[147:148], v[84:85], s[28:29]
	;; [unrolled: 1-line block ×3, first 2 shown]
	v_fma_f64 v[157:158], v[18:19], s[4:5], -v[88:89]
	v_mul_f64 v[133:134], v[38:39], s[24:25]
	v_mul_f64 v[135:136], v[38:39], s[22:23]
	v_mul_f64 v[137:138], v[38:39], s[18:19]
	v_mul_f64 v[149:150], v[38:39], s[30:31]
	v_mul_f64 v[38:39], v[38:39], s[20:21]
	v_add_f64 v[30:31], v[30:31], v[46:47]
	v_add_f64 v[28:29], v[28:29], v[40:41]
	v_fma_f64 v[40:41], v[82:83], s[4:5], v[52:53]
	v_fma_f64 v[52:53], v[50:51], s[14:15], -v[115:116]
	v_fma_f64 v[82:83], v[50:51], s[14:15], v[115:116]
	v_fma_f64 v[115:116], v[50:51], s[12:13], v[117:118]
	v_fma_f64 v[117:118], v[50:51], s[10:11], -v[139:140]
	v_fma_f64 v[139:140], v[50:51], s[10:11], v[139:140]
	v_fma_f64 v[50:51], v[50:51], s[4:5], v[86:87]
	v_add_f64 v[86:87], v[8:9], v[99:100]
	v_add_f64 v[99:100], v[8:9], v[101:102]
	v_add_f64 v[101:102], v[8:9], v[103:104]
	v_add_f64 v[103:104], v[8:9], v[105:106]
	v_add_f64 v[105:106], v[8:9], v[107:108]
	v_add_f64 v[107:108], v[8:9], v[111:112]
	v_fma_f64 v[111:112], v[18:19], s[14:15], v[119:120]
	v_add_f64 v[30:31], v[34:35], v[30:31]
	v_add_f64 v[24:25], v[24:25], v[28:29]
	;; [unrolled: 1-line block ×3, first 2 shown]
	v_fma_f64 v[28:29], v[18:19], s[0:1], -v[48:49]
	v_add_f64 v[52:53], v[52:53], v[56:57]
	v_fma_f64 v[40:41], v[18:19], s[0:1], v[48:49]
	v_fma_f64 v[48:49], v[18:19], s[14:15], -v[119:120]
	v_fma_f64 v[119:120], v[18:19], s[10:11], -v[121:122]
	v_fma_f64 v[121:122], v[18:19], s[10:11], v[121:122]
	v_add_f64 v[54:55], v[113:114], v[86:87]
	v_fma_f64 v[18:19], v[18:19], s[4:5], v[88:89]
	v_add_f64 v[56:57], v[117:118], v[99:100]
	v_add_f64 v[88:89], v[151:152], v[103:104]
	;; [unrolled: 1-line block ×7, first 2 shown]
	v_fma_f64 v[103:104], v[14:15], s[0:1], -v[125:126]
	v_fma_f64 v[105:106], v[14:15], s[0:1], v[125:126]
	v_fma_f64 v[107:108], v[14:15], s[4:5], -v[145:146]
	v_fma_f64 v[109:110], v[14:15], s[4:5], v[145:146]
	v_fma_f64 v[113:114], v[14:15], s[12:13], -v[44:45]
	v_add_f64 v[24:25], v[36:37], v[24:25]
	v_add_f64 v[8:9], v[82:83], v[8:9]
	v_fma_f64 v[36:37], v[14:15], s[6:7], -v[123:124]
	v_fma_f64 v[82:83], v[14:15], s[6:7], v[123:124]
	v_fma_f64 v[44:45], v[14:15], s[12:13], v[44:45]
	v_fma_f64 v[115:116], v[14:15], s[14:15], -v[42:43]
	v_fma_f64 v[14:15], v[14:15], s[14:15], v[42:43]
	v_add_f64 v[28:29], v[28:29], v[52:53]
	v_add_f64 v[42:43], v[155:156], v[54:55]
	v_fma_f64 v[117:118], v[10:11], s[4:5], -v[84:85]
	v_add_f64 v[46:47], v[157:158], v[56:57]
	v_add_f64 v[48:49], v[48:49], v[88:89]
	;; [unrolled: 1-line block ×7, first 2 shown]
	v_fma_f64 v[86:87], v[10:11], s[14:15], -v[129:130]
	v_fma_f64 v[101:102], v[10:11], s[12:13], -v[147:148]
	;; [unrolled: 1-line block ×3, first 2 shown]
	v_fma_f64 v[99:100], v[10:11], s[6:7], v[131:132]
	v_fma_f64 v[88:89], v[10:11], s[14:15], v[129:130]
	v_add_f64 v[24:25], v[32:33], v[24:25]
	v_add_f64 v[8:9], v[40:41], v[8:9]
	v_fma_f64 v[32:33], v[10:11], s[10:11], -v[127:128]
	v_fma_f64 v[40:41], v[10:11], s[10:11], v[127:128]
	v_fma_f64 v[111:112], v[10:11], s[12:13], v[147:148]
	;; [unrolled: 1-line block ×3, first 2 shown]
	v_add_f64 v[22:23], v[22:23], v[30:31]
	v_add_f64 v[28:29], v[36:37], v[28:29]
	v_add_f64 v[34:35], v[107:108], v[42:43]
	v_fma_f64 v[84:85], v[4:5], s[14:15], -v[149:150]
	v_add_f64 v[36:37], v[103:104], v[46:47]
	v_add_f64 v[42:43], v[113:114], v[48:49]
	;; [unrolled: 1-line block ×7, first 2 shown]
	v_fma_f64 v[52:53], v[4:5], s[10:11], -v[135:136]
	v_fma_f64 v[56:57], v[4:5], s[6:7], -v[137:138]
	v_fma_f64 v[50:51], v[4:5], s[12:13], v[133:134]
	v_fma_f64 v[54:55], v[4:5], s[10:11], v[135:136]
	;; [unrolled: 1-line block ×3, first 2 shown]
	v_add_f64 v[20:21], v[20:21], v[24:25]
	v_add_f64 v[8:9], v[82:83], v[8:9]
	v_fma_f64 v[24:25], v[4:5], s[12:13], -v[133:134]
	v_fma_f64 v[82:83], v[4:5], s[6:7], v[137:138]
	v_fma_f64 v[105:106], v[4:5], s[0:1], -v[38:39]
	v_fma_f64 v[4:5], v[4:5], s[0:1], v[38:39]
	v_add_f64 v[28:29], v[32:33], v[28:29]
	v_add_f64 v[30:31], v[86:87], v[34:35]
	;; [unrolled: 1-line block ×23, first 2 shown]
	v_mul_u32_u24_e32 v16, 0x60, v78
	v_add3_u32 v16, v98, v16, v79
	ds_write2_b64 v16, v[20:21], v[24:25] offset0:2 offset1:3
	ds_write2_b64 v16, v[26:27], v[28:29] offset0:4 offset1:5
	;; [unrolled: 1-line block ×5, first 2 shown]
	ds_write2_b64 v16, v[12:13], v[22:23] offset1:1
	ds_write_b64 v16, v[8:9] offset:96
.LBB0_14:
	s_or_b32 exec_lo, exec_lo, s33
	v_and_b32_e32 v4, 0xff, v78
	v_mov_b32_e32 v5, 10
	s_waitcnt lgkmcnt(0)
	s_barrier
	buffer_gl0_inv
	v_mul_lo_u16 v4, 0x4f, v4
	s_mov_b32 s4, 0xf8bb580b
	s_mov_b32 s6, 0x8eee2c13
	s_mov_b32 s10, 0x43842ef
	s_mov_b32 s5, 0xbfe14ced
	v_lshrrev_b16 v20, 10, v4
	s_mov_b32 s7, 0xbfed1bb4
	s_mov_b32 s11, 0xbfefac9e
	;; [unrolled: 1-line block ×4, first 2 shown]
	v_mul_lo_u16 v4, v20, 13
	s_mov_b32 s15, 0xbfe82f19
	s_mov_b32 s21, 0xbfd207e7
	;; [unrolled: 1-line block ×4, first 2 shown]
	v_sub_nc_u16 v21, v78, v4
	s_mov_b32 s12, 0x640f44db
	s_mov_b32 s19, 0x3feaeb8c
	;; [unrolled: 1-line block ×4, first 2 shown]
	v_mul_u32_u24_sdwa v4, v21, v5 dst_sel:DWORD dst_unused:UNUSED_PAD src0_sel:BYTE_0 src1_sel:DWORD
	s_mov_b32 s28, 0x7f775887
	s_mov_b32 s34, 0x9bcd5057
	;; [unrolled: 1-line block ×4, first 2 shown]
	v_lshlrev_b32_e32 v4, 4, v4
	s_mov_b32 s27, 0x3fe14ced
	s_mov_b32 s22, s20
	;; [unrolled: 1-line block ×4, first 2 shown]
	s_clause 0x9
	global_load_dwordx4 v[8:11], v4, s[8:9]
	global_load_dwordx4 v[12:15], v4, s[8:9] offset:16
	global_load_dwordx4 v[22:25], v4, s[8:9] offset:144
	;; [unrolled: 1-line block ×9, first 2 shown]
	ds_read2_b64 v[44:47], v92 offset0:78 offset1:156
	ds_read2_b64 v[98:101], v94 offset0:106 offset1:184
	;; [unrolled: 1-line block ×5, first 2 shown]
	s_mov_b32 s29, 0xbfe4f49e
	s_mov_b32 s35, 0xbfeeb42a
	s_mov_b32 s31, 0x3fed1bb4
	s_mov_b32 s30, s6
	v_and_b32_e32 v20, 0xffff, v20
	v_cmp_gt_u32_e64 s0, 0x41, v78
	v_mad_u32_u24 v20, 0x478, v20, 0
	s_waitcnt vmcnt(9) lgkmcnt(4)
	v_mul_f64 v[4:5], v[44:45], v[10:11]
	s_waitcnt vmcnt(8)
	v_mul_f64 v[36:37], v[46:47], v[14:15]
	v_mul_f64 v[14:15], v[76:77], v[14:15]
	s_waitcnt vmcnt(6) lgkmcnt(3)
	v_mul_f64 v[56:57], v[98:99], v[18:19]
	s_waitcnt vmcnt(5)
	v_mul_f64 v[90:91], v[62:63], v[28:29]
	s_waitcnt vmcnt(4)
	v_mul_f64 v[95:96], v[100:101], v[32:33]
	v_mul_f64 v[110:111], v[72:73], v[32:33]
	s_waitcnt lgkmcnt(0)
	v_mul_f64 v[28:29], v[48:49], v[28:29]
	v_mul_f64 v[18:19], v[70:71], v[18:19]
	s_waitcnt vmcnt(3)
	v_mul_f64 v[112:113], v[102:103], v[42:43]
	s_waitcnt vmcnt(2)
	;; [unrolled: 2-line block ×3, first 2 shown]
	v_mul_f64 v[118:119], v[104:105], v[84:85]
	v_mul_f64 v[42:43], v[66:67], v[42:43]
	;; [unrolled: 1-line block ×3, first 2 shown]
	s_waitcnt vmcnt(0)
	v_mul_f64 v[120:121], v[58:59], v[88:89]
	v_mul_f64 v[54:55], v[108:109], v[54:55]
	;; [unrolled: 1-line block ×3, first 2 shown]
	v_fma_f64 v[34:35], v[74:75], v[8:9], v[4:5]
	v_mul_f64 v[4:5], v[74:75], v[10:11]
	v_mul_f64 v[10:11], v[64:65], v[24:25]
	v_fma_f64 v[38:39], v[76:77], v[12:13], v[36:37]
	v_mul_f64 v[24:25], v[50:51], v[24:25]
	v_fma_f64 v[74:75], v[46:47], v[12:13], -v[14:15]
	v_fma_f64 v[36:37], v[100:101], v[30:31], -v[110:111]
	v_fma_f64 v[46:47], v[68:69], v[82:83], v[118:119]
	v_fma_f64 v[54:55], v[60:61], v[52:53], v[54:55]
	v_add_f64 v[116:117], v[0:1], v[34:35]
	v_fma_f64 v[76:77], v[44:45], v[8:9], -v[4:5]
	v_fma_f64 v[32:33], v[50:51], v[22:23], -v[10:11]
	v_fma_f64 v[4:5], v[48:49], v[26:27], -v[90:91]
	v_fma_f64 v[48:49], v[70:71], v[16:17], v[56:57]
	v_fma_f64 v[64:65], v[64:65], v[22:23], v[24:25]
	;; [unrolled: 1-line block ×3, first 2 shown]
	v_fma_f64 v[70:71], v[98:99], v[16:17], -v[18:19]
	v_fma_f64 v[16:17], v[108:109], v[52:53], -v[114:115]
	v_fma_f64 v[44:45], v[66:67], v[40:41], v[112:113]
	v_fma_f64 v[56:57], v[62:63], v[26:27], v[28:29]
	v_fma_f64 v[18:19], v[106:107], v[86:87], -v[120:121]
	v_fma_f64 v[52:53], v[58:59], v[86:87], v[88:89]
	v_fma_f64 v[28:29], v[104:105], v[82:83], -v[84:85]
	v_fma_f64 v[30:31], v[102:103], v[40:41], -v[42:43]
	v_add_f64 v[8:9], v[116:117], v[38:39]
	v_add_f64 v[10:11], v[76:77], -v[32:33]
	v_add_f64 v[12:13], v[74:75], -v[4:5]
	v_add_f64 v[40:41], v[48:49], v[54:55]
	v_add_f64 v[22:23], v[34:35], v[64:65]
	v_add_f64 v[14:15], v[70:71], -v[16:17]
	v_add_f64 v[58:59], v[44:45], v[46:47]
	v_add_f64 v[26:27], v[38:39], v[56:57]
	v_add_f64 v[24:25], v[36:37], -v[18:19]
	v_add_f64 v[42:43], v[50:51], v[52:53]
	v_add_f64 v[60:61], v[30:31], -v[28:29]
	v_add_f64 v[8:9], v[8:9], v[48:49]
	v_mul_f64 v[62:63], v[10:11], s[4:5]
	v_mul_f64 v[66:67], v[10:11], s[6:7]
	;; [unrolled: 1-line block ×20, first 2 shown]
	v_add_f64 v[8:9], v[8:9], v[50:51]
	v_mul_f64 v[109:110], v[60:61], s[20:21]
	v_fma_f64 v[113:114], v[22:23], s[18:19], v[62:63]
	v_fma_f64 v[115:116], v[22:23], s[16:17], v[66:67]
	v_fma_f64 v[66:67], v[22:23], s[16:17], -v[66:67]
	v_fma_f64 v[117:118], v[22:23], s[12:13], v[68:69]
	v_fma_f64 v[119:120], v[22:23], s[28:29], v[72:73]
	v_fma_f64 v[72:73], v[22:23], s[28:29], -v[72:73]
	v_fma_f64 v[121:122], v[22:23], s[34:35], v[10:11]
	v_fma_f64 v[10:11], v[22:23], s[34:35], -v[10:11]
	v_fma_f64 v[68:69], v[22:23], s[12:13], -v[68:69]
	v_fma_f64 v[22:23], v[22:23], s[18:19], -v[62:63]
	v_fma_f64 v[123:124], v[26:27], s[16:17], v[82:83]
	v_fma_f64 v[82:83], v[26:27], s[16:17], -v[82:83]
	v_fma_f64 v[125:126], v[26:27], s[28:29], v[84:85]
	v_fma_f64 v[84:85], v[26:27], s[28:29], -v[84:85]
	;; [unrolled: 2-line block ×5, first 2 shown]
	v_add_f64 v[8:9], v[8:9], v[44:45]
	v_fma_f64 v[133:134], v[40:41], s[34:35], v[95:96]
	v_add_f64 v[26:27], v[0:1], v[113:114]
	v_add_f64 v[113:114], v[0:1], v[115:116]
	;; [unrolled: 1-line block ×10, first 2 shown]
	v_fma_f64 v[121:122], v[40:41], s[12:13], v[90:91]
	v_fma_f64 v[90:91], v[40:41], s[12:13], -v[90:91]
	v_fma_f64 v[95:96], v[40:41], s[34:35], -v[95:96]
	v_fma_f64 v[135:136], v[40:41], s[16:17], v[97:98]
	v_fma_f64 v[97:98], v[40:41], s[16:17], -v[97:98]
	v_fma_f64 v[137:138], v[40:41], s[18:19], v[99:100]
	;; [unrolled: 2-line block ×3, first 2 shown]
	v_fma_f64 v[14:15], v[40:41], s[28:29], -v[14:15]
	v_mul_f64 v[111:112], v[60:61], s[26:27]
	v_add_f64 v[8:9], v[8:9], v[46:47]
	v_mul_f64 v[62:63], v[60:61], s[14:15]
	v_add_f64 v[26:27], v[123:124], v[26:27]
	v_add_f64 v[40:41], v[125:126], v[113:114]
	;; [unrolled: 1-line block ×10, first 2 shown]
	v_mul_f64 v[22:23], v[60:61], s[30:31]
	v_mul_f64 v[60:61], v[60:61], s[10:11]
	v_fma_f64 v[68:69], v[42:43], s[28:29], v[101:102]
	v_fma_f64 v[82:83], v[42:43], s[28:29], -v[101:102]
	v_fma_f64 v[86:87], v[42:43], s[12:13], v[103:104]
	v_fma_f64 v[101:102], v[42:43], s[12:13], -v[103:104]
	;; [unrolled: 2-line block ×4, first 2 shown]
	v_add_f64 v[8:9], v[8:9], v[52:53]
	v_fma_f64 v[117:118], v[42:43], s[16:17], v[24:25]
	v_fma_f64 v[24:25], v[42:43], s[16:17], -v[24:25]
	v_add_f64 v[26:27], v[121:122], v[26:27]
	v_add_f64 v[40:41], v[133:134], v[40:41]
	;; [unrolled: 1-line block ×10, first 2 shown]
	v_fma_f64 v[14:15], v[58:59], s[34:35], v[109:110]
	v_fma_f64 v[90:91], v[58:59], s[34:35], -v[109:110]
	v_fma_f64 v[95:96], v[58:59], s[18:19], v[111:112]
	v_fma_f64 v[97:98], v[58:59], s[18:19], -v[111:112]
	;; [unrolled: 2-line block ×4, first 2 shown]
	v_fma_f64 v[111:112], v[58:59], s[12:13], v[60:61]
	v_add_f64 v[8:9], v[8:9], v[54:55]
	v_fma_f64 v[58:59], v[58:59], s[12:13], -v[60:61]
	v_add_f64 v[26:27], v[68:69], v[26:27]
	v_add_f64 v[40:41], v[86:87], v[40:41]
	;; [unrolled: 1-line block ×21, first 2 shown]
	v_mov_b32_e32 v58, 3
	v_add_nc_u32_e32 v61, 0xc00, v92
	v_lshlrev_b32_sdwa v21, v58, v21 dst_sel:DWORD dst_unused:UNUSED_PAD src0_sel:DWORD src1_sel:BYTE_0
	ds_read_b64 v[58:59], v93
	s_waitcnt lgkmcnt(0)
	s_barrier
	v_add_f64 v[24:25], v[82:83], v[64:65]
	v_add3_u32 v60, v20, v21, v79
	buffer_gl0_inv
	ds_write2_b64 v60, v[40:41], v[42:43] offset0:26 offset1:39
	ds_write2_b64 v60, v[66:67], v[22:23] offset0:52 offset1:65
	;; [unrolled: 1-line block ×4, first 2 shown]
	ds_write_b64 v60, v[0:1] offset:1040
	ds_write2_b64 v60, v[24:25], v[26:27] offset1:13
	s_waitcnt lgkmcnt(0)
	s_barrier
	buffer_gl0_inv
	ds_read2_b64 v[20:23], v94 offset0:15 offset1:158
	ds_read2_b64 v[24:27], v61 offset0:45 offset1:188
	ds_read_b64 v[40:41], v93
	ds_read_b64 v[42:43], v92 offset:5720
	s_and_saveexec_b32 s1, s0
	s_cbranch_execz .LBB0_16
; %bb.15:
	v_add_nc_u32_e32 v0, 0x800, v92
	v_add_nc_u32_e32 v1, 0x1400, v92
	ds_read2_b64 v[8:11], v92 offset0:78 offset1:221
	ds_read2_b64 v[12:15], v0 offset0:108 offset1:251
	;; [unrolled: 1-line block ×3, first 2 shown]
.LBB0_16:
	s_or_b32 exec_lo, exec_lo, s1
	v_add_f64 v[62:63], v[58:59], v[76:77]
	v_add_f64 v[66:67], v[76:77], v[32:33]
	v_add_f64 v[68:69], v[74:75], v[4:5]
	v_add_f64 v[34:35], v[34:35], -v[64:65]
	v_add_f64 v[38:39], v[38:39], -v[56:57]
	;; [unrolled: 1-line block ×4, first 2 shown]
	v_add_f64 v[72:73], v[70:71], v[16:17]
	v_add_f64 v[64:65], v[36:37], v[18:19]
	s_mov_b32 s37, 0x3fe82f19
	s_mov_b32 s36, s14
	v_add_f64 v[50:51], v[50:51], -v[52:53]
	v_add_f64 v[52:53], v[30:31], v[28:29]
	s_waitcnt lgkmcnt(0)
	s_barrier
	buffer_gl0_inv
	v_add_f64 v[62:63], v[62:63], v[74:75]
	v_mul_f64 v[46:47], v[66:67], s[18:19]
	v_mul_f64 v[54:55], v[66:67], s[16:17]
	;; [unrolled: 1-line block ×18, first 2 shown]
	v_add_f64 v[62:63], v[62:63], v[70:71]
	v_mul_f64 v[70:71], v[66:67], s[28:29]
	v_mul_f64 v[66:67], v[66:67], s[34:35]
	v_fma_f64 v[106:107], v[34:35], s[26:27], v[46:47]
	v_fma_f64 v[108:109], v[34:35], s[30:31], v[54:55]
	;; [unrolled: 1-line block ×16, first 2 shown]
	v_add_f64 v[36:37], v[62:63], v[36:37]
	v_fma_f64 v[112:113], v[34:35], s[36:37], v[70:71]
	v_fma_f64 v[70:71], v[34:35], s[14:15], v[70:71]
	;; [unrolled: 1-line block ×5, first 2 shown]
	v_mul_f64 v[62:63], v[72:73], s[34:35]
	v_mul_f64 v[72:73], v[72:73], s[28:29]
	v_fma_f64 v[46:47], v[38:39], s[30:31], v[74:75]
	v_fma_f64 v[74:75], v[38:39], s[6:7], v[74:75]
	;; [unrolled: 1-line block ×3, first 2 shown]
	v_add_f64 v[68:69], v[58:59], v[106:107]
	v_add_f64 v[106:107], v[58:59], v[108:109]
	v_add_f64 v[54:55], v[58:59], v[54:55]
	v_add_f64 v[108:109], v[58:59], v[110:111]
	v_add_f64 v[56:57], v[58:59], v[56:57]
	v_add_f64 v[30:31], v[36:37], v[30:31]
	v_add_f64 v[110:111], v[58:59], v[112:113]
	v_add_f64 v[70:71], v[58:59], v[70:71]
	v_add_f64 v[112:113], v[58:59], v[114:115]
	v_add_f64 v[66:67], v[58:59], v[66:67]
	v_add_f64 v[34:35], v[58:59], v[34:35]
	v_fma_f64 v[58:59], v[48:49], s[24:25], v[86:87]
	v_fma_f64 v[86:87], v[48:49], s[10:11], v[86:87]
	;; [unrolled: 1-line block ×6, first 2 shown]
	v_add_f64 v[46:47], v[46:47], v[68:69]
	v_add_f64 v[68:69], v[116:117], v[106:107]
	;; [unrolled: 1-line block ×5, first 2 shown]
	v_mul_f64 v[36:37], v[52:53], s[28:29]
	v_fma_f64 v[82:83], v[50:51], s[24:25], v[96:97]
	v_fma_f64 v[106:107], v[50:51], s[6:7], v[64:65]
	v_add_f64 v[28:29], v[30:31], v[28:29]
	v_add_f64 v[76:77], v[120:121], v[110:111]
	;; [unrolled: 1-line block ×6, first 2 shown]
	v_mul_f64 v[30:31], v[52:53], s[16:17]
	v_fma_f64 v[66:67], v[50:51], s[14:15], v[94:95]
	v_fma_f64 v[74:75], v[50:51], s[10:11], v[96:97]
	;; [unrolled: 1-line block ×3, first 2 shown]
	v_add_f64 v[46:47], v[58:59], v[46:47]
	v_add_f64 v[58:59], v[114:115], v[68:69]
	;; [unrolled: 1-line block ×4, first 2 shown]
	v_fma_f64 v[72:73], v[44:45], s[4:5], v[104:105]
	v_add_f64 v[18:19], v[28:29], v[18:19]
	v_mul_f64 v[28:29], v[52:53], s[12:13]
	v_fma_f64 v[52:53], v[50:51], s[36:37], v[94:95]
	v_fma_f64 v[94:95], v[50:51], s[26:27], v[98:99]
	;; [unrolled: 1-line block ×5, first 2 shown]
	v_add_f64 v[64:65], v[126:127], v[76:77]
	v_add_f64 v[68:69], v[90:91], v[70:71]
	;; [unrolled: 1-line block ×6, first 2 shown]
	v_fma_f64 v[56:57], v[44:45], s[20:21], v[102:103]
	v_fma_f64 v[76:77], v[44:45], s[26:27], v[104:105]
	;; [unrolled: 1-line block ×6, first 2 shown]
	v_add_f64 v[16:17], v[18:19], v[16:17]
	v_fma_f64 v[18:19], v[44:45], s[22:23], v[102:103]
	v_fma_f64 v[90:91], v[44:45], s[24:25], v[28:29]
	;; [unrolled: 1-line block ×3, first 2 shown]
	v_add_f64 v[30:31], v[52:53], v[46:47]
	v_add_f64 v[44:45], v[74:75], v[58:59]
	;; [unrolled: 1-line block ×21, first 2 shown]
	v_add_nc_u32_e32 v34, 0x400, v92
	v_add_f64 v[32:33], v[50:51], v[32:33]
	ds_write2_b64 v60, v[44:45], v[46:47] offset0:26 offset1:39
	ds_write2_b64 v60, v[52:53], v[54:55] offset0:52 offset1:65
	;; [unrolled: 1-line block ×4, first 2 shown]
	ds_write_b64 v60, v[4:5] offset:1040
	ds_write2_b64 v60, v[32:33], v[64:65] offset1:13
	s_waitcnt lgkmcnt(0)
	s_barrier
	buffer_gl0_inv
	ds_read2_b64 v[32:35], v34 offset0:15 offset1:158
	ds_read2_b64 v[36:39], v61 offset0:45 offset1:188
	ds_read_b64 v[44:45], v93
	ds_read_b64 v[46:47], v92 offset:5720
	s_and_saveexec_b32 s1, s0
	s_cbranch_execz .LBB0_18
; %bb.17:
	v_add_nc_u32_e32 v4, 0x800, v92
	v_add_nc_u32_e32 v5, 0x1400, v92
	ds_read2_b64 v[16:19], v92 offset0:78 offset1:221
	ds_read2_b64 v[28:31], v4 offset0:108 offset1:251
	;; [unrolled: 1-line block ×3, first 2 shown]
.LBB0_18:
	s_or_b32 exec_lo, exec_lo, s1
	s_and_saveexec_b32 s1, vcc_lo
	s_cbranch_execz .LBB0_21
; %bb.19:
	v_mul_u32_u24_e32 v48, 5, v78
	s_mov_b32 s6, 0xe8584caa
	s_mov_b32 s7, 0xbfebb67a
	;; [unrolled: 1-line block ×4, first 2 shown]
	v_lshlrev_b32_e32 v48, 4, v48
	v_mov_b32_e32 v79, 0
	v_add_co_u32 v48, s1, s8, v48
	v_add_co_ci_u32_e64 v49, null, s9, 0, s1
	v_add_co_u32 v64, vcc_lo, 0x820, v48
	v_add_co_ci_u32_e32 v65, vcc_lo, 0, v49, vcc_lo
	v_add_co_u32 v56, vcc_lo, 0x800, v48
	v_add_co_ci_u32_e32 v57, vcc_lo, 0, v49, vcc_lo
	s_clause 0x4
	global_load_dwordx4 v[48:51], v[64:65], off offset:32
	global_load_dwordx4 v[52:55], v[56:57], off offset:96
	;; [unrolled: 1-line block ×5, first 2 shown]
	s_waitcnt vmcnt(4)
	v_mul_f64 v[68:69], v[24:25], v[50:51]
	s_waitcnt vmcnt(3)
	v_mul_f64 v[70:71], v[42:43], v[54:55]
	s_waitcnt lgkmcnt(2)
	v_mul_f64 v[50:51], v[36:37], v[50:51]
	s_waitcnt lgkmcnt(0)
	v_mul_f64 v[54:55], v[46:47], v[54:55]
	s_waitcnt vmcnt(2)
	v_mul_f64 v[72:73], v[20:21], v[58:59]
	v_mul_f64 v[20:21], v[20:21], v[56:57]
	v_fma_f64 v[36:37], v[36:37], v[48:49], -v[68:69]
	v_fma_f64 v[46:47], v[46:47], v[52:53], -v[70:71]
	s_waitcnt vmcnt(1)
	v_mul_f64 v[68:69], v[22:23], v[62:63]
	s_waitcnt vmcnt(0)
	v_mul_f64 v[70:71], v[26:27], v[66:67]
	v_mul_f64 v[62:63], v[34:35], v[62:63]
	v_mul_f64 v[66:67], v[38:39], v[66:67]
	v_fma_f64 v[24:25], v[24:25], v[48:49], v[50:51]
	v_fma_f64 v[42:43], v[42:43], v[52:53], v[54:55]
	v_fma_f64 v[48:49], v[32:33], v[56:57], -v[72:73]
	v_fma_f64 v[20:21], v[32:33], v[58:59], v[20:21]
	v_add_f64 v[50:51], v[36:37], v[46:47]
	v_fma_f64 v[34:35], v[34:35], v[60:61], -v[68:69]
	v_fma_f64 v[38:39], v[38:39], v[64:65], -v[70:71]
	v_fma_f64 v[22:23], v[22:23], v[60:61], v[62:63]
	v_fma_f64 v[26:27], v[26:27], v[64:65], v[66:67]
	v_add_f64 v[56:57], v[36:37], -v[46:47]
	v_add_f64 v[32:33], v[24:25], v[42:43]
	v_add_f64 v[52:53], v[24:25], -v[42:43]
	v_add_f64 v[36:37], v[36:37], v[48:49]
	v_fma_f64 v[50:51], v[50:51], -0.5, v[48:49]
	v_add_f64 v[62:63], v[44:45], v[34:35]
	v_add_f64 v[54:55], v[34:35], v[38:39]
	v_add_f64 v[34:35], v[34:35], -v[38:39]
	v_add_f64 v[58:59], v[22:23], v[26:27]
	v_fma_f64 v[32:33], v[32:33], -0.5, v[20:21]
	v_add_f64 v[20:21], v[24:25], v[20:21]
	v_add_f64 v[46:47], v[46:47], v[36:37]
	v_fma_f64 v[60:61], v[52:53], s[6:7], v[50:51]
	v_fma_f64 v[50:51], v[52:53], s[4:5], v[50:51]
	v_add_f64 v[52:53], v[22:23], -v[26:27]
	v_add_f64 v[22:23], v[40:41], v[22:23]
	v_fma_f64 v[24:25], v[54:55], -0.5, v[44:45]
	v_fma_f64 v[40:41], v[58:59], -0.5, v[40:41]
	v_fma_f64 v[44:45], v[56:57], s[4:5], v[32:33]
	v_fma_f64 v[32:33], v[56:57], s[6:7], v[32:33]
	v_add_f64 v[38:39], v[62:63], v[38:39]
	v_add_f64 v[42:43], v[42:43], v[20:21]
	v_lshlrev_b64 v[58:59], 4, v[78:79]
	v_add_co_u32 v20, vcc_lo, s2, v80
	v_add_co_ci_u32_e32 v21, vcc_lo, s3, v81, vcc_lo
	v_add_co_u32 v20, vcc_lo, v20, v58
	v_add_co_ci_u32_e32 v21, vcc_lo, v21, v59, vcc_lo
	v_mul_f64 v[48:49], v[60:61], -0.5
	v_mul_f64 v[54:55], v[50:51], 0.5
	v_mul_f64 v[50:51], v[50:51], s[6:7]
	v_mul_f64 v[56:57], v[60:61], s[6:7]
	v_add_f64 v[26:27], v[22:23], v[26:27]
	v_fma_f64 v[60:61], v[52:53], s[6:7], v[24:25]
	v_fma_f64 v[24:25], v[52:53], s[4:5], v[24:25]
	;; [unrolled: 1-line block ×4, first 2 shown]
	v_add_f64 v[36:37], v[38:39], -v[46:47]
	v_add_f64 v[40:41], v[38:39], v[46:47]
	v_add_co_u32 v22, vcc_lo, 0x800, v20
	v_add_co_ci_u32_e32 v23, vcc_lo, 0, v21, vcc_lo
	v_fma_f64 v[52:53], v[44:45], s[4:5], v[48:49]
	v_fma_f64 v[54:55], v[32:33], s[4:5], v[54:55]
	v_fma_f64 v[32:33], v[32:33], 0.5, v[50:51]
	v_fma_f64 v[66:67], v[44:45], -0.5, v[56:57]
	v_add_f64 v[38:39], v[26:27], v[42:43]
	v_add_f64 v[34:35], v[26:27], -v[42:43]
	v_add_f64 v[44:45], v[60:61], -v[52:53]
	;; [unrolled: 1-line block ×3, first 2 shown]
	v_add_f64 v[56:57], v[24:25], v[54:55]
	v_add_f64 v[54:55], v[64:65], v[32:33]
	;; [unrolled: 1-line block ×4, first 2 shown]
	v_add_f64 v[46:47], v[64:65], -v[32:33]
	v_add_f64 v[42:43], v[62:63], -v[66:67]
	v_add_co_u32 v24, vcc_lo, 0x1000, v20
	v_add_co_ci_u32_e32 v25, vcc_lo, 0, v21, vcc_lo
	v_add_co_u32 v26, vcc_lo, 0x1800, v20
	v_add_co_ci_u32_e32 v27, vcc_lo, 0, v21, vcc_lo
	;; [unrolled: 2-line block ×4, first 2 shown]
	global_store_dwordx4 v[20:21], v[38:41], off
	global_store_dwordx4 v[26:27], v[34:37], off offset:720
	global_store_dwordx4 v[22:23], v[54:57], off offset:240
	;; [unrolled: 1-line block ×5, first 2 shown]
	s_and_b32 exec_lo, exec_lo, s0
	s_cbranch_execz .LBB0_21
; %bb.20:
	v_mov_b32_e32 v34, 0x4e
	v_cndmask_b32_e64 v34, 0xffffffbf, v34, s0
	v_add_nc_u32_e32 v34, v78, v34
	v_mul_i32_i24_e32 v78, 5, v34
	v_lshlrev_b64 v[34:35], 4, v[78:79]
	v_add_co_u32 v34, vcc_lo, s8, v34
	v_add_co_ci_u32_e32 v35, vcc_lo, s9, v35, vcc_lo
	v_add_co_u32 v50, vcc_lo, 0x820, v34
	v_add_co_ci_u32_e32 v51, vcc_lo, 0, v35, vcc_lo
	;; [unrolled: 2-line block ×3, first 2 shown]
	s_clause 0x4
	global_load_dwordx4 v[34:37], v[50:51], off offset:32
	global_load_dwordx4 v[38:41], v[42:43], off offset:96
	;; [unrolled: 1-line block ×5, first 2 shown]
	s_waitcnt vmcnt(4)
	v_mul_f64 v[54:55], v[14:15], v[36:37]
	s_waitcnt vmcnt(3)
	v_mul_f64 v[56:57], v[2:3], v[40:41]
	;; [unrolled: 2-line block ×3, first 2 shown]
	v_mul_f64 v[36:37], v[30:31], v[36:37]
	v_mul_f64 v[40:41], v[6:7], v[40:41]
	;; [unrolled: 1-line block ×3, first 2 shown]
	v_fma_f64 v[30:31], v[30:31], v[34:35], -v[54:55]
	v_fma_f64 v[6:7], v[6:7], v[38:39], -v[56:57]
	s_waitcnt vmcnt(1)
	v_mul_f64 v[54:55], v[28:29], v[48:49]
	v_mul_f64 v[48:49], v[12:13], v[48:49]
	s_waitcnt vmcnt(0)
	v_mul_f64 v[56:57], v[4:5], v[52:53]
	v_mul_f64 v[52:53], v[0:1], v[52:53]
	v_fma_f64 v[14:15], v[14:15], v[34:35], v[36:37]
	v_fma_f64 v[2:3], v[2:3], v[38:39], v[40:41]
	v_fma_f64 v[18:19], v[18:19], v[42:43], -v[58:59]
	v_fma_f64 v[10:11], v[10:11], v[42:43], v[44:45]
	v_add_f64 v[34:35], v[30:31], v[6:7]
	v_fma_f64 v[12:13], v[12:13], v[46:47], v[54:55]
	v_fma_f64 v[28:29], v[28:29], v[46:47], -v[48:49]
	v_fma_f64 v[0:1], v[0:1], v[50:51], v[56:57]
	v_fma_f64 v[4:5], v[4:5], v[50:51], -v[52:53]
	v_add_f64 v[44:45], v[30:31], -v[6:7]
	v_add_f64 v[36:37], v[14:15], v[2:3]
	v_add_f64 v[38:39], v[14:15], -v[2:3]
	v_fma_f64 v[34:35], v[34:35], -0.5, v[18:19]
	v_add_f64 v[40:41], v[12:13], v[0:1]
	v_add_f64 v[42:43], v[28:29], v[4:5]
	v_add_f64 v[48:49], v[28:29], -v[4:5]
	v_fma_f64 v[36:37], v[36:37], -0.5, v[10:11]
	v_add_f64 v[28:29], v[16:17], v[28:29]
	v_add_f64 v[10:11], v[10:11], v[14:15]
	;; [unrolled: 1-line block ×3, first 2 shown]
	v_fma_f64 v[46:47], v[38:39], s[4:5], v[34:35]
	v_fma_f64 v[34:35], v[38:39], s[6:7], v[34:35]
	v_add_f64 v[38:39], v[8:9], v[12:13]
	v_add_f64 v[12:13], v[12:13], -v[0:1]
	v_fma_f64 v[8:9], v[40:41], -0.5, v[8:9]
	v_fma_f64 v[16:17], v[42:43], -0.5, v[16:17]
	v_fma_f64 v[18:19], v[44:45], s[6:7], v[36:37]
	v_fma_f64 v[30:31], v[44:45], s[4:5], v[36:37]
	v_add_f64 v[28:29], v[28:29], v[4:5]
	v_add_f64 v[4:5], v[10:11], v[2:3]
	;; [unrolled: 1-line block ×3, first 2 shown]
	v_mul_f64 v[36:37], v[46:47], s[6:7]
	v_mul_f64 v[42:43], v[46:47], 0.5
	v_mul_f64 v[40:41], v[34:35], s[6:7]
	v_mul_f64 v[34:35], v[34:35], -0.5
	v_add_f64 v[38:39], v[38:39], v[0:1]
	v_fma_f64 v[44:45], v[48:49], s[6:7], v[8:9]
	v_fma_f64 v[46:47], v[48:49], s[4:5], v[8:9]
	;; [unrolled: 1-line block ×4, first 2 shown]
	v_add_f64 v[2:3], v[28:29], v[6:7]
	v_add_f64 v[6:7], v[28:29], -v[6:7]
	v_fma_f64 v[16:17], v[18:19], 0.5, v[36:37]
	v_fma_f64 v[18:19], v[18:19], s[4:5], v[42:43]
	v_fma_f64 v[36:37], v[30:31], -0.5, v[40:41]
	v_fma_f64 v[30:31], v[30:31], s[4:5], v[34:35]
	v_add_f64 v[0:1], v[38:39], v[4:5]
	v_add_f64 v[4:5], v[38:39], -v[4:5]
	v_add_co_u32 v34, vcc_lo, 0x3000, v20
	v_add_co_ci_u32_e32 v35, vcc_lo, 0, v21, vcc_lo
	v_add_f64 v[8:9], v[44:45], v[16:17]
	v_add_f64 v[10:11], v[48:49], v[18:19]
	;; [unrolled: 1-line block ×4, first 2 shown]
	v_add_f64 v[16:17], v[44:45], -v[16:17]
	v_add_f64 v[18:19], v[48:49], -v[18:19]
	;; [unrolled: 1-line block ×4, first 2 shown]
	global_store_dwordx4 v[20:21], v[0:3], off offset:1248
	global_store_dwordx4 v[26:27], v[4:7], off offset:1968
	;; [unrolled: 1-line block ×6, first 2 shown]
.LBB0_21:
	s_endpgm
	.section	.rodata,"a",@progbits
	.p2align	6, 0x0
	.amdhsa_kernel fft_rtc_back_len858_factors_13_11_6_wgs_234_tpt_78_halfLds_dp_ip_CI_unitstride_sbrr_dirReg
		.amdhsa_group_segment_fixed_size 0
		.amdhsa_private_segment_fixed_size 0
		.amdhsa_kernarg_size 88
		.amdhsa_user_sgpr_count 6
		.amdhsa_user_sgpr_private_segment_buffer 1
		.amdhsa_user_sgpr_dispatch_ptr 0
		.amdhsa_user_sgpr_queue_ptr 0
		.amdhsa_user_sgpr_kernarg_segment_ptr 1
		.amdhsa_user_sgpr_dispatch_id 0
		.amdhsa_user_sgpr_flat_scratch_init 0
		.amdhsa_user_sgpr_private_segment_size 0
		.amdhsa_wavefront_size32 1
		.amdhsa_uses_dynamic_stack 0
		.amdhsa_system_sgpr_private_segment_wavefront_offset 0
		.amdhsa_system_sgpr_workgroup_id_x 1
		.amdhsa_system_sgpr_workgroup_id_y 0
		.amdhsa_system_sgpr_workgroup_id_z 0
		.amdhsa_system_sgpr_workgroup_info 0
		.amdhsa_system_vgpr_workitem_id 0
		.amdhsa_next_free_vgpr 159
		.amdhsa_next_free_sgpr 44
		.amdhsa_reserve_vcc 1
		.amdhsa_reserve_flat_scratch 0
		.amdhsa_float_round_mode_32 0
		.amdhsa_float_round_mode_16_64 0
		.amdhsa_float_denorm_mode_32 3
		.amdhsa_float_denorm_mode_16_64 3
		.amdhsa_dx10_clamp 1
		.amdhsa_ieee_mode 1
		.amdhsa_fp16_overflow 0
		.amdhsa_workgroup_processor_mode 1
		.amdhsa_memory_ordered 1
		.amdhsa_forward_progress 0
		.amdhsa_shared_vgpr_count 0
		.amdhsa_exception_fp_ieee_invalid_op 0
		.amdhsa_exception_fp_denorm_src 0
		.amdhsa_exception_fp_ieee_div_zero 0
		.amdhsa_exception_fp_ieee_overflow 0
		.amdhsa_exception_fp_ieee_underflow 0
		.amdhsa_exception_fp_ieee_inexact 0
		.amdhsa_exception_int_div_zero 0
	.end_amdhsa_kernel
	.text
.Lfunc_end0:
	.size	fft_rtc_back_len858_factors_13_11_6_wgs_234_tpt_78_halfLds_dp_ip_CI_unitstride_sbrr_dirReg, .Lfunc_end0-fft_rtc_back_len858_factors_13_11_6_wgs_234_tpt_78_halfLds_dp_ip_CI_unitstride_sbrr_dirReg
                                        ; -- End function
	.section	.AMDGPU.csdata,"",@progbits
; Kernel info:
; codeLenInByte = 10812
; NumSgprs: 46
; NumVgprs: 159
; ScratchSize: 0
; MemoryBound: 1
; FloatMode: 240
; IeeeMode: 1
; LDSByteSize: 0 bytes/workgroup (compile time only)
; SGPRBlocks: 5
; VGPRBlocks: 19
; NumSGPRsForWavesPerEU: 46
; NumVGPRsForWavesPerEU: 159
; Occupancy: 6
; WaveLimiterHint : 1
; COMPUTE_PGM_RSRC2:SCRATCH_EN: 0
; COMPUTE_PGM_RSRC2:USER_SGPR: 6
; COMPUTE_PGM_RSRC2:TRAP_HANDLER: 0
; COMPUTE_PGM_RSRC2:TGID_X_EN: 1
; COMPUTE_PGM_RSRC2:TGID_Y_EN: 0
; COMPUTE_PGM_RSRC2:TGID_Z_EN: 0
; COMPUTE_PGM_RSRC2:TIDIG_COMP_CNT: 0
	.text
	.p2alignl 6, 3214868480
	.fill 48, 4, 3214868480
	.type	__hip_cuid_48145c7d41c0feba,@object ; @__hip_cuid_48145c7d41c0feba
	.section	.bss,"aw",@nobits
	.globl	__hip_cuid_48145c7d41c0feba
__hip_cuid_48145c7d41c0feba:
	.byte	0                               ; 0x0
	.size	__hip_cuid_48145c7d41c0feba, 1

	.ident	"AMD clang version 19.0.0git (https://github.com/RadeonOpenCompute/llvm-project roc-6.4.0 25133 c7fe45cf4b819c5991fe208aaa96edf142730f1d)"
	.section	".note.GNU-stack","",@progbits
	.addrsig
	.addrsig_sym __hip_cuid_48145c7d41c0feba
	.amdgpu_metadata
---
amdhsa.kernels:
  - .args:
      - .actual_access:  read_only
        .address_space:  global
        .offset:         0
        .size:           8
        .value_kind:     global_buffer
      - .offset:         8
        .size:           8
        .value_kind:     by_value
      - .actual_access:  read_only
        .address_space:  global
        .offset:         16
        .size:           8
        .value_kind:     global_buffer
      - .actual_access:  read_only
        .address_space:  global
        .offset:         24
        .size:           8
        .value_kind:     global_buffer
      - .offset:         32
        .size:           8
        .value_kind:     by_value
      - .actual_access:  read_only
        .address_space:  global
        .offset:         40
        .size:           8
        .value_kind:     global_buffer
      - .actual_access:  read_only
        .address_space:  global
        .offset:         48
        .size:           8
        .value_kind:     global_buffer
      - .offset:         56
        .size:           4
        .value_kind:     by_value
      - .actual_access:  read_only
        .address_space:  global
        .offset:         64
        .size:           8
        .value_kind:     global_buffer
      - .actual_access:  read_only
        .address_space:  global
        .offset:         72
        .size:           8
        .value_kind:     global_buffer
      - .address_space:  global
        .offset:         80
        .size:           8
        .value_kind:     global_buffer
    .group_segment_fixed_size: 0
    .kernarg_segment_align: 8
    .kernarg_segment_size: 88
    .language:       OpenCL C
    .language_version:
      - 2
      - 0
    .max_flat_workgroup_size: 234
    .name:           fft_rtc_back_len858_factors_13_11_6_wgs_234_tpt_78_halfLds_dp_ip_CI_unitstride_sbrr_dirReg
    .private_segment_fixed_size: 0
    .sgpr_count:     46
    .sgpr_spill_count: 0
    .symbol:         fft_rtc_back_len858_factors_13_11_6_wgs_234_tpt_78_halfLds_dp_ip_CI_unitstride_sbrr_dirReg.kd
    .uniform_work_group_size: 1
    .uses_dynamic_stack: false
    .vgpr_count:     159
    .vgpr_spill_count: 0
    .wavefront_size: 32
    .workgroup_processor_mode: 1
amdhsa.target:   amdgcn-amd-amdhsa--gfx1030
amdhsa.version:
  - 1
  - 2
...

	.end_amdgpu_metadata
